;; amdgpu-corpus repo=ROCm/rocFFT kind=compiled arch=gfx950 opt=O3
	.text
	.amdgcn_target "amdgcn-amd-amdhsa--gfx950"
	.amdhsa_code_object_version 6
	.protected	fft_rtc_back_len90_factors_3_3_10_wgs_63_tpt_9_halfLds_dp_op_CI_CI_unitstride_sbrr_dirReg ; -- Begin function fft_rtc_back_len90_factors_3_3_10_wgs_63_tpt_9_halfLds_dp_op_CI_CI_unitstride_sbrr_dirReg
	.globl	fft_rtc_back_len90_factors_3_3_10_wgs_63_tpt_9_halfLds_dp_op_CI_CI_unitstride_sbrr_dirReg
	.p2align	8
	.type	fft_rtc_back_len90_factors_3_3_10_wgs_63_tpt_9_halfLds_dp_op_CI_CI_unitstride_sbrr_dirReg,@function
fft_rtc_back_len90_factors_3_3_10_wgs_63_tpt_9_halfLds_dp_op_CI_CI_unitstride_sbrr_dirReg: ; @fft_rtc_back_len90_factors_3_3_10_wgs_63_tpt_9_halfLds_dp_op_CI_CI_unitstride_sbrr_dirReg
; %bb.0:
	s_load_dwordx4 s[4:7], s[0:1], 0x58
	s_load_dwordx4 s[8:11], s[0:1], 0x0
	;; [unrolled: 1-line block ×3, first 2 shown]
	v_mul_u32_u24_e32 v1, 0x1c72, v0
	v_lshrrev_b32_e32 v2, 16, v1
	v_mad_u64_u32 v[4:5], s[2:3], s2, 7, v[2:3]
	v_mov_b32_e32 v2, 0
	v_mov_b32_e32 v5, v2
	s_waitcnt lgkmcnt(0)
	v_cmp_lt_u64_e64 s[2:3], s[10:11], 2
	v_mov_b64_e32 v[6:7], 0
	s_and_b64 vcc, exec, s[2:3]
	v_mov_b64_e32 v[66:67], v[6:7]
	v_mov_b64_e32 v[70:71], v[4:5]
	s_cbranch_vccnz .LBB0_8
; %bb.1:
	s_load_dwordx2 s[2:3], s[0:1], 0x10
	s_add_u32 s16, s14, 8
	s_addc_u32 s17, s15, 0
	s_add_u32 s18, s12, 8
	s_addc_u32 s19, s13, 0
	s_waitcnt lgkmcnt(0)
	s_add_u32 s20, s2, 8
	v_mov_b64_e32 v[6:7], 0
	s_addc_u32 s21, s3, 0
	s_mov_b64 s[22:23], 1
	v_mov_b64_e32 v[66:67], v[6:7]
	v_mov_b64_e32 v[8:9], v[4:5]
.LBB0_2:                                ; =>This Inner Loop Header: Depth=1
	s_load_dwordx2 s[24:25], s[20:21], 0x0
                                        ; implicit-def: $vgpr70_vgpr71
	s_waitcnt lgkmcnt(0)
	v_or_b32_e32 v3, s25, v9
	v_cmp_ne_u64_e32 vcc, 0, v[2:3]
	s_and_saveexec_b64 s[2:3], vcc
	s_xor_b64 s[26:27], exec, s[2:3]
	s_cbranch_execz .LBB0_4
; %bb.3:                                ;   in Loop: Header=BB0_2 Depth=1
	v_cvt_f32_u32_e32 v1, s24
	v_cvt_f32_u32_e32 v3, s25
	s_sub_u32 s2, 0, s24
	s_subb_u32 s3, 0, s25
	v_fmac_f32_e32 v1, 0x4f800000, v3
	v_rcp_f32_e32 v1, v1
	s_nop 0
	v_mul_f32_e32 v1, 0x5f7ffffc, v1
	v_mul_f32_e32 v3, 0x2f800000, v1
	v_trunc_f32_e32 v3, v3
	v_fmac_f32_e32 v1, 0xcf800000, v3
	v_cvt_u32_f32_e32 v3, v3
	v_cvt_u32_f32_e32 v1, v1
	v_mul_lo_u32 v5, s2, v3
	v_mul_hi_u32 v10, s2, v1
	v_mul_lo_u32 v11, s3, v1
	v_add_u32_e32 v5, v10, v5
	v_mul_lo_u32 v14, s2, v1
	v_add_u32_e32 v5, v5, v11
	v_mul_hi_u32 v10, v1, v14
	v_mul_hi_u32 v13, v1, v5
	v_mul_lo_u32 v12, v1, v5
	v_mov_b32_e32 v11, v2
	v_lshl_add_u64 v[10:11], v[10:11], 0, v[12:13]
	v_mul_hi_u32 v13, v3, v14
	v_mul_lo_u32 v14, v3, v14
	v_add_co_u32_e32 v10, vcc, v10, v14
	v_mul_hi_u32 v12, v3, v5
	s_nop 0
	v_addc_co_u32_e32 v10, vcc, v11, v13, vcc
	v_mov_b32_e32 v11, v2
	s_nop 0
	v_addc_co_u32_e32 v13, vcc, 0, v12, vcc
	v_mul_lo_u32 v12, v3, v5
	v_lshl_add_u64 v[10:11], v[10:11], 0, v[12:13]
	v_add_co_u32_e32 v1, vcc, v1, v10
	v_mul_hi_u32 v10, s2, v1
	s_nop 0
	v_addc_co_u32_e32 v3, vcc, v3, v11, vcc
	v_mul_lo_u32 v5, s2, v3
	v_add_u32_e32 v5, v10, v5
	v_mul_lo_u32 v10, s3, v1
	v_add_u32_e32 v5, v5, v10
	v_mul_lo_u32 v12, s2, v1
	v_mul_hi_u32 v15, v3, v12
	v_mul_lo_u32 v16, v3, v12
	v_mul_hi_u32 v11, v1, v5
	;; [unrolled: 2-line block ×3, first 2 shown]
	v_mov_b32_e32 v13, v2
	v_lshl_add_u64 v[10:11], v[12:13], 0, v[10:11]
	v_add_co_u32_e32 v10, vcc, v10, v16
	v_mul_hi_u32 v14, v3, v5
	s_nop 0
	v_addc_co_u32_e32 v10, vcc, v11, v15, vcc
	v_mul_lo_u32 v12, v3, v5
	s_nop 0
	v_addc_co_u32_e32 v13, vcc, 0, v14, vcc
	v_mov_b32_e32 v11, v2
	v_lshl_add_u64 v[10:11], v[10:11], 0, v[12:13]
	v_add_co_u32_e32 v1, vcc, v1, v10
	v_mul_hi_u32 v12, v8, v1
	s_nop 0
	v_addc_co_u32_e32 v3, vcc, v3, v11, vcc
	v_mad_u64_u32 v[10:11], s[2:3], v8, v3, 0
	v_mov_b32_e32 v13, v2
	v_lshl_add_u64 v[10:11], v[12:13], 0, v[10:11]
	v_mad_u64_u32 v[14:15], s[2:3], v9, v1, 0
	v_add_co_u32_e32 v1, vcc, v10, v14
	v_mad_u64_u32 v[12:13], s[2:3], v9, v3, 0
	s_nop 0
	v_addc_co_u32_e32 v10, vcc, v11, v15, vcc
	v_mov_b32_e32 v11, v2
	s_nop 0
	v_addc_co_u32_e32 v13, vcc, 0, v13, vcc
	v_lshl_add_u64 v[10:11], v[10:11], 0, v[12:13]
	v_mul_lo_u32 v1, s25, v10
	v_mul_lo_u32 v3, s24, v11
	v_mad_u64_u32 v[12:13], s[2:3], s24, v10, 0
	v_add3_u32 v1, v13, v3, v1
	v_sub_u32_e32 v3, v9, v1
	v_mov_b32_e32 v5, s25
	v_sub_co_u32_e32 v16, vcc, v8, v12
	v_lshl_add_u64 v[14:15], v[10:11], 0, 1
	s_nop 0
	v_subb_co_u32_e64 v3, s[2:3], v3, v5, vcc
	v_subrev_co_u32_e64 v5, s[2:3], s24, v16
	v_subb_co_u32_e32 v1, vcc, v9, v1, vcc
	s_nop 0
	v_subbrev_co_u32_e64 v3, s[2:3], 0, v3, s[2:3]
	v_cmp_le_u32_e64 s[2:3], s25, v3
	v_cmp_le_u32_e32 vcc, s25, v1
	s_nop 0
	v_cndmask_b32_e64 v12, 0, -1, s[2:3]
	v_cmp_le_u32_e64 s[2:3], s24, v5
	s_nop 1
	v_cndmask_b32_e64 v5, 0, -1, s[2:3]
	v_cmp_eq_u32_e64 s[2:3], s25, v3
	s_nop 1
	v_cndmask_b32_e64 v3, v12, v5, s[2:3]
	v_lshl_add_u64 v[12:13], v[10:11], 0, 2
	v_cmp_ne_u32_e64 s[2:3], 0, v3
	v_cndmask_b32_e64 v5, 0, -1, vcc
	v_cmp_le_u32_e32 vcc, s24, v16
	v_cndmask_b32_e64 v3, v15, v13, s[2:3]
	s_nop 0
	v_cndmask_b32_e64 v13, 0, -1, vcc
	v_cmp_eq_u32_e32 vcc, s25, v1
	s_nop 1
	v_cndmask_b32_e32 v1, v5, v13, vcc
	v_cmp_ne_u32_e32 vcc, 0, v1
	v_cndmask_b32_e64 v1, v14, v12, s[2:3]
	s_nop 0
	v_cndmask_b32_e32 v71, v11, v3, vcc
	v_cndmask_b32_e32 v70, v10, v1, vcc
.LBB0_4:                                ;   in Loop: Header=BB0_2 Depth=1
	s_andn2_saveexec_b64 s[2:3], s[26:27]
	s_cbranch_execz .LBB0_6
; %bb.5:                                ;   in Loop: Header=BB0_2 Depth=1
	v_cvt_f32_u32_e32 v1, s24
	s_sub_i32 s26, 0, s24
	v_mov_b32_e32 v71, v2
	v_rcp_iflag_f32_e32 v1, v1
	s_nop 0
	v_mul_f32_e32 v1, 0x4f7ffffe, v1
	v_cvt_u32_f32_e32 v1, v1
	v_mul_lo_u32 v3, s26, v1
	v_mul_hi_u32 v3, v1, v3
	v_add_u32_e32 v1, v1, v3
	v_mul_hi_u32 v1, v8, v1
	v_mul_lo_u32 v3, v1, s24
	v_sub_u32_e32 v3, v8, v3
	v_add_u32_e32 v5, 1, v1
	v_subrev_u32_e32 v10, s24, v3
	v_cmp_le_u32_e32 vcc, s24, v3
	s_nop 1
	v_cndmask_b32_e32 v3, v3, v10, vcc
	v_cndmask_b32_e32 v1, v1, v5, vcc
	v_add_u32_e32 v5, 1, v1
	v_cmp_le_u32_e32 vcc, s24, v3
	s_nop 1
	v_cndmask_b32_e32 v70, v1, v5, vcc
.LBB0_6:                                ;   in Loop: Header=BB0_2 Depth=1
	s_or_b64 exec, exec, s[2:3]
	v_mad_u64_u32 v[10:11], s[2:3], v70, s24, 0
	s_load_dwordx2 s[2:3], s[18:19], 0x0
	s_add_u32 s22, s22, 1
	v_mul_lo_u32 v1, v71, s24
	v_mul_lo_u32 v3, v70, s25
	s_load_dwordx2 s[24:25], s[16:17], 0x0
	s_addc_u32 s23, s23, 0
	v_add3_u32 v1, v11, v3, v1
	v_sub_co_u32_e32 v3, vcc, v8, v10
	s_add_u32 s16, s16, 8
	s_nop 0
	v_subb_co_u32_e32 v1, vcc, v9, v1, vcc
	s_addc_u32 s17, s17, 0
	s_waitcnt lgkmcnt(0)
	v_mul_lo_u32 v5, s2, v1
	v_mul_lo_u32 v8, s3, v3
	v_mad_u64_u32 v[6:7], s[2:3], s2, v3, v[6:7]
	s_add_u32 s18, s18, 8
	v_add3_u32 v7, v8, v7, v5
	s_addc_u32 s19, s19, 0
	v_mov_b64_e32 v[8:9], s[10:11]
	v_mul_lo_u32 v1, s24, v1
	v_mul_lo_u32 v5, s25, v3
	v_mad_u64_u32 v[66:67], s[2:3], s24, v3, v[66:67]
	s_add_u32 s20, s20, 8
	v_cmp_ge_u64_e32 vcc, s[22:23], v[8:9]
	v_add3_u32 v67, v5, v67, v1
	s_addc_u32 s21, s21, 0
	s_cbranch_vccnz .LBB0_8
; %bb.7:                                ;   in Loop: Header=BB0_2 Depth=1
	v_mov_b64_e32 v[8:9], v[70:71]
	s_branch .LBB0_2
.LBB0_8:
	s_load_dwordx2 s[0:1], s[0:1], 0x28
	s_lshl_b64 s[16:17], s[10:11], 3
	s_add_u32 s2, s14, s16
	s_addc_u32 s3, s15, s17
                                        ; implicit-def: $sgpr14
                                        ; implicit-def: $vgpr69
	s_waitcnt lgkmcnt(0)
	v_cmp_gt_u64_e32 vcc, s[0:1], v[70:71]
	v_cmp_le_u64_e64 s[0:1], s[0:1], v[70:71]
	s_and_saveexec_b64 s[10:11], s[0:1]
	s_xor_b64 s[0:1], exec, s[10:11]
; %bb.9:
	s_mov_b32 s10, 0x1c71c71d
	v_mul_hi_u32 v1, v0, s10
	v_mul_u32_u24_e32 v1, 9, v1
	v_sub_u32_e32 v69, v0, v1
	s_mov_b32 s14, 0
                                        ; implicit-def: $vgpr0
                                        ; implicit-def: $vgpr6_vgpr7
; %bb.10:
	s_or_saveexec_b64 s[10:11], s[0:1]
	s_load_dwordx2 s[2:3], s[2:3], 0x0
	v_mov_b32_e32 v68, s14
                                        ; implicit-def: $vgpr56_vgpr57
                                        ; implicit-def: $vgpr48_vgpr49
                                        ; implicit-def: $vgpr2_vgpr3
                                        ; implicit-def: $vgpr40_vgpr41
                                        ; implicit-def: $vgpr10_vgpr11
                                        ; implicit-def: $vgpr24_vgpr25
                                        ; implicit-def: $vgpr36_vgpr37
                                        ; implicit-def: $vgpr44_vgpr45
                                        ; implicit-def: $vgpr20_vgpr21
                                        ; implicit-def: $vgpr52_vgpr53
                                        ; implicit-def: $vgpr60_vgpr61
                                        ; implicit-def: $vgpr16_vgpr17
	s_xor_b64 exec, exec, s[10:11]
	s_cbranch_execz .LBB0_14
; %bb.11:
	s_add_u32 s0, s12, s16
	s_addc_u32 s1, s13, s17
	s_load_dwordx2 s[0:1], s[0:1], 0x0
	s_mov_b32 s12, 0x1c71c71d
                                        ; implicit-def: $vgpr46_vgpr47
                                        ; implicit-def: $vgpr54_vgpr55
	s_waitcnt lgkmcnt(0)
	v_mul_lo_u32 v1, s1, v70
	v_mul_lo_u32 v5, s0, v71
	v_mad_u64_u32 v[2:3], s[0:1], s0, v70, 0
	v_add3_u32 v3, v3, v5, v1
	v_mul_hi_u32 v1, v0, s12
	v_mul_u32_u24_e32 v1, 9, v1
	v_sub_u32_e32 v69, v0, v1
	v_lshl_add_u64 v[0:1], v[2:3], 4, s[4:5]
	v_lshl_add_u64 v[0:1], v[6:7], 4, v[0:1]
	v_lshlrev_b32_e32 v2, 4, v69
	v_mov_b32_e32 v3, 0
	v_lshl_add_u64 v[6:7], v[0:1], 0, v[2:3]
	global_load_dwordx4 v[14:17], v[6:7], off
	global_load_dwordx4 v[18:21], v[6:7], off offset:144
	global_load_dwordx4 v[50:53], v[6:7], off offset:960
	;; [unrolled: 1-line block ×8, first 2 shown]
	v_cmp_gt_u32_e64 s[0:1], 3, v69
                                        ; implicit-def: $vgpr0_vgpr1
	s_and_saveexec_b64 s[4:5], s[0:1]
	s_cbranch_execz .LBB0_13
; %bb.12:
	global_load_dwordx4 v[0:3], v[6:7], off offset:432
	global_load_dwordx4 v[46:49], v[6:7], off offset:912
	;; [unrolled: 1-line block ×3, first 2 shown]
.LBB0_13:
	s_or_b64 exec, exec, s[4:5]
	v_mov_b32_e32 v68, v69
.LBB0_14:
	s_or_b64 exec, exec, s[10:11]
	s_mov_b32 s0, 0x24924925
	v_mul_hi_u32 v5, v4, s0
	v_sub_u32_e32 v6, v4, v5
	v_lshrrev_b32_e32 v6, 1, v6
	v_add_u32_e32 v5, v6, v5
	v_lshrrev_b32_e32 v5, 2, v5
	v_mul_lo_u32 v5, v5, 7
	v_sub_u32_e32 v4, v4, v5
	v_mul_u32_u24_e32 v12, 0x5a, v4
	s_waitcnt vmcnt(4)
	v_add_f64 v[6:7], v[50:51], v[58:59]
	s_mov_b32 s0, 0xe8584caa
	v_add_f64 v[4:5], v[58:59], v[14:15]
	v_fmac_f64_e32 v[14:15], -0.5, v[6:7]
	v_add_f64 v[6:7], v[60:61], -v[52:53]
	s_mov_b32 s1, 0xbfebb67a
	v_mad_u32_u24 v13, v69, 24, 0
	v_lshlrev_b32_e32 v76, 3, v12
	v_add_f64 v[4:5], v[50:51], v[4:5]
	v_fma_f64 v[26:27], s[0:1], v[6:7], v[14:15]
	s_mov_b32 s5, 0x3febb67a
	s_mov_b32 s4, s0
	s_waitcnt vmcnt(2)
	v_add_f64 v[28:29], v[34:35], v[42:43]
	v_add_u32_e32 v77, v13, v76
	v_fmac_f64_e32 v[14:15], s[4:5], v[6:7]
	v_add_f64 v[6:7], v[42:43], v[18:19]
	v_fmac_f64_e32 v[18:19], -0.5, v[28:29]
	ds_write2_b64 v77, v[4:5], v[26:27] offset1:1
	v_add_f64 v[4:5], v[44:45], -v[36:37]
	v_fma_f64 v[26:27], s[0:1], v[4:5], v[18:19]
	s_waitcnt vmcnt(0)
	v_add_f64 v[28:29], v[38:39], v[8:9]
	v_add_f64 v[6:7], v[34:35], v[6:7]
	v_fmac_f64_e32 v[18:19], s[4:5], v[4:5]
	v_add_f64 v[4:5], v[8:9], v[22:23]
	v_fmac_f64_e32 v[22:23], -0.5, v[28:29]
	ds_write2_b64 v77, v[6:7], v[26:27] offset0:27 offset1:28
	v_add_f64 v[6:7], v[10:11], -v[40:41]
	v_add_u32_e32 v13, 0x1b0, v13
	v_add_f64 v[4:5], v[38:39], v[4:5]
	v_fma_f64 v[26:27], s[0:1], v[6:7], v[22:23]
	v_fmac_f64_e32 v[22:23], s[4:5], v[6:7]
	v_add_f64 v[6:7], v[46:47], v[0:1]
	v_add_u32_e32 v78, v13, v76
	ds_write2_b64 v78, v[4:5], v[26:27] offset1:1
	v_add_f64 v[4:5], v[54:55], v[6:7]
	v_add_f64 v[6:7], v[54:55], v[46:47]
	v_fmac_f64_e32 v[0:1], -0.5, v[6:7]
	v_add_f64 v[26:27], v[48:49], -v[56:57]
	v_fma_f64 v[6:7], s[0:1], v[26:27], v[0:1]
	v_fmac_f64_e32 v[0:1], s[4:5], v[26:27]
	v_cmp_gt_u32_e64 s[0:1], 3, v69
	ds_write2_b64 v77, v[14:15], v[18:19] offset0:2 offset1:29
	ds_write_b64 v78, v[22:23] offset:16
	s_and_saveexec_b64 s[4:5], s[0:1]
	s_cbranch_execz .LBB0_16
; %bb.15:
	v_lshl_add_u32 v12, v12, 3, v13
	ds_write2_b64 v12, v[4:5], v[6:7] offset0:27 offset1:28
	ds_write_b64 v12, v[0:1] offset:232
.LBB0_16:
	s_or_b64 exec, exec, s[4:5]
	v_lshlrev_b32_e32 v12, 3, v69
	v_add3_u32 v74, 0, v76, v12
	v_add3_u32 v75, 0, v12, v76
	s_waitcnt lgkmcnt(0)
	; wave barrier
	s_waitcnt lgkmcnt(0)
	ds_read_b64 v[72:73], v74
	ds_read2_b64 v[62:65], v75 offset0:30 offset1:39
	ds_read2_b64 v[30:33], v75 offset0:48 offset1:60
	;; [unrolled: 1-line block ×4, first 2 shown]
	v_add_u32_e32 v18, 0xd8, v77
	s_and_saveexec_b64 s[4:5], s[0:1]
	s_cbranch_execz .LBB0_18
; %bb.17:
	ds_read2_b64 v[4:7], v75 offset0:27 offset1:57
	ds_read_b64 v[0:1], v75 offset:696
.LBB0_18:
	s_or_b64 exec, exec, s[4:5]
	v_add_f64 v[22:23], v[60:61], v[16:17]
	v_add_f64 v[22:23], v[52:53], v[22:23]
	;; [unrolled: 1-line block ×3, first 2 shown]
	s_mov_b32 s4, 0xe8584caa
	v_fmac_f64_e32 v[16:17], -0.5, v[52:53]
	v_add_f64 v[50:51], v[58:59], -v[50:51]
	s_mov_b32 s5, 0x3febb67a
	s_mov_b32 s11, 0xbfebb67a
	;; [unrolled: 1-line block ×3, first 2 shown]
	v_fma_f64 v[52:53], s[4:5], v[50:51], v[16:17]
	v_fmac_f64_e32 v[16:17], s[10:11], v[50:51]
	v_add_f64 v[50:51], v[44:45], v[20:21]
	v_add_f64 v[50:51], v[36:37], v[50:51]
	;; [unrolled: 1-line block ×3, first 2 shown]
	v_fmac_f64_e32 v[20:21], -0.5, v[36:37]
	v_add_f64 v[34:35], v[42:43], -v[34:35]
	v_fma_f64 v[36:37], s[4:5], v[34:35], v[20:21]
	v_fmac_f64_e32 v[20:21], s[10:11], v[34:35]
	v_add_f64 v[34:35], v[10:11], v[24:25]
	v_add_f64 v[10:11], v[40:41], v[10:11]
	v_fmac_f64_e32 v[24:25], -0.5, v[10:11]
	v_add_f64 v[8:9], v[8:9], -v[38:39]
	v_add_f64 v[10:11], v[56:57], v[48:49]
	v_add_f64 v[34:35], v[40:41], v[34:35]
	v_fma_f64 v[38:39], s[4:5], v[8:9], v[24:25]
	v_fmac_f64_e32 v[24:25], s[10:11], v[8:9]
	v_add_f64 v[8:9], v[48:49], v[2:3]
	v_fmac_f64_e32 v[2:3], -0.5, v[10:11]
	v_add_f64 v[40:41], v[46:47], -v[54:55]
	v_add_f64 v[8:9], v[56:57], v[8:9]
	v_fma_f64 v[10:11], s[4:5], v[40:41], v[2:3]
	v_fmac_f64_e32 v[2:3], s[10:11], v[40:41]
	v_add_u32_e32 v42, 27, v69
	s_waitcnt lgkmcnt(0)
	; wave barrier
	s_waitcnt lgkmcnt(0)
	ds_write2_b64 v77, v[22:23], v[52:53] offset1:1
	ds_write_b64 v77, v[16:17] offset:16
	ds_write2_b64 v18, v[50:51], v[36:37] offset1:1
	ds_write_b64 v18, v[20:21] offset:16
	;; [unrolled: 2-line block ×3, first 2 shown]
	s_and_saveexec_b64 s[4:5], s[0:1]
	s_cbranch_execz .LBB0_20
; %bb.19:
	v_mul_u32_u24_e32 v16, 24, v42
	v_add3_u32 v16, 0, v16, v76
	ds_write2_b64 v16, v[8:9], v[10:11] offset1:1
	ds_write_b64 v16, v[2:3] offset:16
.LBB0_20:
	s_or_b64 exec, exec, s[4:5]
	s_waitcnt lgkmcnt(0)
	; wave barrier
	s_waitcnt lgkmcnt(0)
	ds_read_b64 v[24:25], v74
	ds_read2_b64 v[38:41], v75 offset0:30 offset1:39
	ds_read2_b64 v[34:37], v75 offset0:48 offset1:60
	;; [unrolled: 1-line block ×4, first 2 shown]
	s_and_saveexec_b64 s[4:5], s[0:1]
	s_cbranch_execz .LBB0_22
; %bb.21:
	ds_read2_b64 v[8:11], v75 offset0:27 offset1:57
	ds_read_b64 v[2:3], v75 offset:696
.LBB0_22:
	s_or_b64 exec, exec, s[4:5]
	s_movk_i32 s4, 0xab
	v_mul_lo_u16_sdwa v43, v69, s4 dst_sel:DWORD dst_unused:UNUSED_PAD src0_sel:BYTE_0 src1_sel:DWORD
	v_add_u16_e32 v45, 9, v69
	v_lshrrev_b16_e32 v57, 9, v43
	v_mul_lo_u16_sdwa v46, v45, s4 dst_sel:DWORD dst_unused:UNUSED_PAD src0_sel:BYTE_0 src1_sel:DWORD
	v_mul_lo_u16_e32 v43, 3, v57
	v_lshrrev_b16_e32 v98, 9, v46
	v_sub_u16_e32 v77, v69, v43
	v_mov_b32_e32 v43, 5
	v_mul_lo_u16_e32 v46, 3, v98
	v_lshlrev_b32_sdwa v44, v43, v77 dst_sel:DWORD dst_unused:UNUSED_PAD src0_sel:DWORD src1_sel:BYTE_0
	v_sub_u16_e32 v99, v45, v46
	v_lshlrev_b32_sdwa v45, v43, v99 dst_sel:DWORD dst_unused:UNUSED_PAD src0_sel:DWORD src1_sel:BYTE_0
	global_load_dwordx4 v[46:49], v44, s[8:9]
	global_load_dwordx4 v[58:61], v44, s[8:9] offset:16
	global_load_dwordx4 v[50:53], v45, s[8:9]
	v_add_u16_e32 v44, 18, v69
	v_mul_lo_u16_sdwa v54, v44, s4 dst_sel:DWORD dst_unused:UNUSED_PAD src0_sel:BYTE_0 src1_sel:DWORD
	v_lshrrev_b16_e32 v100, 9, v54
	v_mul_lo_u16_e32 v54, 3, v100
	v_sub_u16_e32 v101, v44, v54
	v_lshlrev_b32_sdwa v44, v43, v101 dst_sel:DWORD dst_unused:UNUSED_PAD src0_sel:DWORD src1_sel:BYTE_0
	global_load_dwordx4 v[78:81], v44, s[8:9]
	global_load_dwordx4 v[82:85], v45, s[8:9] offset:16
	v_mul_lo_u16_sdwa v45, v42, s4 dst_sel:DWORD dst_unused:UNUSED_PAD src0_sel:BYTE_0 src1_sel:DWORD
	v_lshrrev_b16_e32 v45, 9, v45
	global_load_dwordx4 v[86:89], v44, s[8:9] offset:16
	v_mul_lo_u16_e32 v44, 3, v45
	v_sub_u16_e32 v56, v42, v44
	v_lshlrev_b32_sdwa v42, v43, v56 dst_sel:DWORD dst_unused:UNUSED_PAD src0_sel:DWORD src1_sel:BYTE_0
	global_load_dwordx4 v[90:93], v42, s[8:9]
	global_load_dwordx4 v[94:97], v42, s[8:9] offset:16
	s_movk_i32 s12, 0x48
	s_mov_b32 s4, 0xe8584caa
	s_mov_b32 s5, 0xbfebb67a
	;; [unrolled: 1-line block ×4, first 2 shown]
	s_waitcnt lgkmcnt(0)
	; wave barrier
	s_waitcnt vmcnt(7) lgkmcnt(0)
	v_mul_f64 v[44:45], v[38:39], v[48:49]
	v_mul_f64 v[48:49], v[62:63], v[48:49]
	s_waitcnt vmcnt(5)
	v_mul_f64 v[42:43], v[40:41], v[52:53]
	v_mul_f64 v[52:53], v[64:65], v[52:53]
	v_fma_f64 v[48:49], v[38:39], v[46:47], -v[48:49]
	v_fmac_f64_e32 v[44:45], v[62:63], v[46:47]
	v_mul_f64 v[46:47], v[36:37], v[60:61]
	v_mul_f64 v[54:55], v[32:33], v[60:61]
	s_waitcnt vmcnt(4)
	v_mul_f64 v[38:39], v[34:35], v[80:81]
	v_mul_f64 v[60:61], v[30:31], v[80:81]
	v_fma_f64 v[40:41], v[40:41], v[50:51], -v[52:53]
	s_waitcnt vmcnt(3)
	v_mul_f64 v[52:53], v[20:21], v[84:85]
	v_fmac_f64_e32 v[38:39], v[30:31], v[78:79]
	v_fmac_f64_e32 v[42:43], v[64:65], v[50:51]
	v_mul_f64 v[62:63], v[26:27], v[84:85]
	s_waitcnt vmcnt(2)
	v_mul_f64 v[50:51], v[22:23], v[88:89]
	s_waitcnt vmcnt(0)
	v_mul_f64 v[30:31], v[2:3], v[96:97]
	v_mul_f64 v[64:65], v[28:29], v[88:89]
	v_fmac_f64_e32 v[46:47], v[32:33], v[58:59]
	v_fma_f64 v[36:37], v[36:37], v[58:59], -v[54:55]
	v_mul_f64 v[58:59], v[6:7], v[92:93]
	v_mul_f64 v[80:81], v[0:1], v[96:97]
	v_fmac_f64_e32 v[52:53], v[26:27], v[82:83]
	v_fmac_f64_e32 v[30:31], v[0:1], v[94:95]
	v_add_f64 v[0:1], v[72:73], v[44:45]
	v_mul_f64 v[32:33], v[10:11], v[92:93]
	v_fma_f64 v[34:35], v[34:35], v[78:79], -v[60:61]
	v_fma_f64 v[54:55], v[20:21], v[82:83], -v[62:63]
	v_fmac_f64_e32 v[50:51], v[28:29], v[86:87]
	v_fma_f64 v[20:21], v[22:23], v[86:87], -v[64:65]
	v_fma_f64 v[22:23], v[10:11], v[90:91], -v[58:59]
	v_fma_f64 v[26:27], v[2:3], v[94:95], -v[80:81]
	v_add_f64 v[2:3], v[44:45], v[46:47]
	v_add_f64 v[10:11], v[12:13], v[42:43]
	;; [unrolled: 1-line block ×4, first 2 shown]
	v_mov_b32_e32 v0, 3
	v_fmac_f64_e32 v[72:73], -0.5, v[2:3]
	v_add_f64 v[2:3], v[10:11], v[52:53]
	v_fma_f64 v[10:11], -0.5, v[28:29], v[12:13]
	v_mad_u32_u24 v1, v57, s12, 0
	v_lshlrev_b32_sdwa v28, v0, v77 dst_sel:DWORD dst_unused:UNUSED_PAD src0_sel:DWORD src1_sel:BYTE_0
	v_fmac_f64_e32 v[32:33], v[6:7], v[90:91]
	v_add_f64 v[6:7], v[48:49], -v[36:37]
	v_add_f64 v[58:59], v[40:41], -v[54:55]
	v_add_f64 v[60:61], v[14:15], v[38:39]
	v_add3_u32 v28, v1, v28, v76
	v_mad_u32_u24 v1, v98, s12, 0
	v_lshlrev_b32_sdwa v29, v0, v99 dst_sel:DWORD dst_unused:UNUSED_PAD src0_sel:DWORD src1_sel:BYTE_0
	v_add_f64 v[62:63], v[38:39], v[50:51]
	v_add_f64 v[12:13], v[60:61], v[50:51]
	v_fma_f64 v[60:61], s[4:5], v[6:7], v[72:73]
	v_fmac_f64_e32 v[72:73], s[10:11], v[6:7]
	v_fma_f64 v[6:7], s[4:5], v[58:59], v[10:11]
	v_add3_u32 v29, v1, v29, v76
	v_add_f64 v[64:65], v[34:35], -v[20:21]
	v_fmac_f64_e32 v[14:15], -0.5, v[62:63]
	v_fmac_f64_e32 v[10:11], s[10:11], v[58:59]
	ds_write2_b64 v28, v[78:79], v[60:61] offset1:3
	ds_write_b64 v28, v[72:73] offset:48
	ds_write2_b64 v29, v[2:3], v[6:7] offset1:3
	ds_write_b64 v29, v[10:11] offset:48
	v_mad_u32_u24 v1, v100, s12, 0
	v_lshlrev_b32_sdwa v2, v0, v101 dst_sel:DWORD dst_unused:UNUSED_PAD src0_sel:DWORD src1_sel:BYTE_0
	v_fma_f64 v[58:59], s[4:5], v[64:65], v[14:15]
	v_add3_u32 v57, v1, v2, v76
	v_fmac_f64_e32 v[14:15], s[10:11], v[64:65]
	ds_write2_b64 v57, v[12:13], v[58:59] offset1:3
	ds_write_b64 v57, v[14:15] offset:48
	s_and_saveexec_b64 s[12:13], s[0:1]
	s_cbranch_execz .LBB0_24
; %bb.23:
	v_lshlrev_b32_sdwa v0, v0, v56 dst_sel:DWORD dst_unused:UNUSED_PAD src0_sel:DWORD src1_sel:BYTE_0
	v_add_f64 v[2:3], v[32:33], v[30:31]
	v_add3_u32 v10, 0, v0, v76
	v_add_f64 v[0:1], v[22:23], -v[26:27]
	v_fma_f64 v[2:3], -0.5, v[2:3], v[4:5]
	v_fma_f64 v[6:7], s[10:11], v[0:1], v[2:3]
	v_fmac_f64_e32 v[2:3], s[4:5], v[0:1]
	v_add_f64 v[0:1], v[4:5], v[32:33]
	v_add_f64 v[0:1], v[0:1], v[30:31]
	ds_write2_b64 v10, v[0:1], v[2:3] offset0:81 offset1:84
	ds_write_b64 v10, v[6:7] offset:696
.LBB0_24:
	s_or_b64 exec, exec, s[12:13]
	v_add_f64 v[0:1], v[24:25], v[48:49]
	v_add_f64 v[58:59], v[0:1], v[36:37]
	;; [unrolled: 1-line block ×3, first 2 shown]
	v_fmac_f64_e32 v[24:25], -0.5, v[0:1]
	v_add_f64 v[0:1], v[44:45], -v[46:47]
	v_fma_f64 v[36:37], s[10:11], v[0:1], v[24:25]
	v_fmac_f64_e32 v[24:25], s[4:5], v[0:1]
	v_add_f64 v[0:1], v[16:17], v[40:41]
	v_add_f64 v[44:45], v[0:1], v[54:55]
	;; [unrolled: 1-line block ×3, first 2 shown]
	v_fma_f64 v[40:41], -0.5, v[0:1], v[16:17]
	v_add_f64 v[0:1], v[42:43], -v[52:53]
	v_fma_f64 v[42:43], s[10:11], v[0:1], v[40:41]
	v_fmac_f64_e32 v[40:41], s[4:5], v[0:1]
	v_add_f64 v[0:1], v[18:19], v[34:35]
	v_add_f64 v[46:47], v[0:1], v[20:21]
	;; [unrolled: 1-line block ×3, first 2 shown]
	v_fmac_f64_e32 v[18:19], -0.5, v[0:1]
	v_add_f64 v[0:1], v[38:39], -v[50:51]
	v_fma_f64 v[38:39], s[10:11], v[0:1], v[18:19]
	v_fmac_f64_e32 v[18:19], s[4:5], v[0:1]
	s_waitcnt lgkmcnt(0)
	; wave barrier
	s_waitcnt lgkmcnt(0)
	ds_read2_b64 v[0:3], v75 offset0:9 offset1:18
	ds_read2_b64 v[10:13], v75 offset0:27 offset1:36
	ds_read2_b64 v[4:7], v75 offset0:45 offset1:54
	ds_read2_b64 v[14:17], v75 offset0:63 offset1:72
	ds_read_b64 v[20:21], v74
	ds_read_b64 v[34:35], v75 offset:648
	s_waitcnt lgkmcnt(0)
	; wave barrier
	s_waitcnt lgkmcnt(0)
	ds_write2_b64 v28, v[58:59], v[36:37] offset1:3
	ds_write_b64 v28, v[24:25] offset:48
	ds_write2_b64 v29, v[44:45], v[42:43] offset1:3
	ds_write_b64 v29, v[40:41] offset:48
	ds_write2_b64 v57, v[46:47], v[38:39] offset1:3
	ds_write_b64 v57, v[18:19] offset:48
	s_and_saveexec_b64 s[4:5], s[0:1]
	s_cbranch_execz .LBB0_26
; %bb.25:
	v_add_f64 v[18:19], v[8:9], v[22:23]
	v_add_f64 v[22:23], v[22:23], v[26:27]
	v_fmac_f64_e32 v[8:9], -0.5, v[22:23]
	v_add_f64 v[22:23], v[32:33], -v[30:31]
	s_mov_b32 s1, 0x3febb67a
	s_mov_b32 s0, 0xe8584caa
	v_fma_f64 v[24:25], s[0:1], v[22:23], v[8:9]
	s_mov_b32 s1, 0xbfebb67a
	v_fmac_f64_e32 v[8:9], s[0:1], v[22:23]
	v_mov_b32_e32 v22, 3
	v_lshlrev_b32_sdwa v22, v22, v56 dst_sel:DWORD dst_unused:UNUSED_PAD src0_sel:DWORD src1_sel:BYTE_0
	v_add_f64 v[18:19], v[18:19], v[26:27]
	v_add3_u32 v22, 0, v22, v76
	ds_write2_b64 v22, v[18:19], v[24:25] offset0:81 offset1:84
	ds_write_b64 v22, v[8:9] offset:696
.LBB0_26:
	s_or_b64 exec, exec, s[4:5]
	s_waitcnt lgkmcnt(0)
	; wave barrier
	s_waitcnt lgkmcnt(0)
	s_and_saveexec_b64 s[0:1], vcc
	s_cbranch_execz .LBB0_28
; %bb.27:
	v_mul_u32_u24_e32 v8, 9, v69
	v_lshlrev_b32_e32 v8, 4, v8
	global_load_dwordx4 v[36:39], v8, s[8:9] offset:112
	global_load_dwordx4 v[40:43], v8, s[8:9] offset:144
	global_load_dwordx4 v[44:47], v8, s[8:9] offset:208
	global_load_dwordx4 v[48:51], v8, s[8:9] offset:176
	global_load_dwordx4 v[52:55], v8, s[8:9] offset:128
	global_load_dwordx4 v[56:59], v8, s[8:9] offset:160
	global_load_dwordx4 v[60:63], v8, s[8:9] offset:224
	global_load_dwordx4 v[76:79], v8, s[8:9] offset:192
	global_load_dwordx4 v[80:83], v8, s[8:9] offset:96
	v_mul_lo_u32 v18, s3, v70
	v_mul_lo_u32 v19, s2, v71
	v_mad_u64_u32 v[8:9], s[0:1], s2, v70, 0
	ds_read2_b64 v[70:73], v75 offset0:9 offset1:18
	ds_read2_b64 v[84:87], v75 offset0:27 offset1:36
	;; [unrolled: 1-line block ×4, first 2 shown]
	ds_read_b64 v[64:65], v74
	ds_read_b64 v[74:75], v75 offset:648
	v_add3_u32 v9, v9, v19, v18
	s_mov_b32 s4, 0x134454ff
	s_mov_b32 s5, 0xbfee6f0e
	;; [unrolled: 1-line block ×16, first 2 shown]
	v_lshl_add_u64 v[8:9], v[8:9], 4, s[6:7]
	v_mov_b32_e32 v69, 0
	v_lshl_add_u64 v[8:9], v[66:67], 4, v[8:9]
	v_lshl_add_u64 v[8:9], v[68:69], 4, v[8:9]
	s_waitcnt vmcnt(8)
	v_mul_f64 v[96:97], v[2:3], v[38:39]
	s_waitcnt vmcnt(7)
	v_mul_f64 v[98:99], v[12:13], v[42:43]
	;; [unrolled: 2-line block ×4, first 2 shown]
	s_waitcnt lgkmcnt(3)
	v_mul_f64 v[18:19], v[90:91], v[46:47]
	s_waitcnt lgkmcnt(2)
	v_mul_f64 v[28:29], v[94:95], v[50:51]
	v_mul_f64 v[22:23], v[72:73], v[38:39]
	;; [unrolled: 1-line block ×3, first 2 shown]
	s_waitcnt vmcnt(4)
	v_mul_f64 v[26:27], v[10:11], v[52:53]
	s_waitcnt vmcnt(3)
	v_mul_f64 v[32:33], v[4:5], v[56:57]
	;; [unrolled: 2-line block ×3, first 2 shown]
	v_mul_f64 v[38:39], v[4:5], v[58:59]
	s_waitcnt vmcnt(1)
	v_mul_f64 v[4:5], v[14:15], v[76:77]
	v_mul_f64 v[42:43], v[14:15], v[78:79]
	;; [unrolled: 1-line block ×4, first 2 shown]
	v_fma_f64 v[46:47], v[90:91], v[44:45], -v[100:101]
	v_fmac_f64_e32 v[18:19], v[16:17], v[44:45]
	v_fma_f64 v[16:17], v[86:87], v[40:41], -v[98:99]
	v_fma_f64 v[44:45], v[94:95], v[48:49], -v[102:103]
	v_fmac_f64_e32 v[28:29], v[6:7], v[48:49]
	v_fma_f64 v[48:49], v[72:73], v[36:37], -v[96:97]
	s_waitcnt vmcnt(0)
	v_mul_f64 v[14:15], v[0:1], v[80:81]
	v_fmac_f64_e32 v[24:25], v[12:13], v[40:41]
	v_fmac_f64_e32 v[22:23], v[2:3], v[36:37]
	;; [unrolled: 1-line block ×4, first 2 shown]
	s_waitcnt lgkmcnt(0)
	v_fmac_f64_e32 v[30:31], v[74:75], v[62:63]
	v_fmac_f64_e32 v[4:5], v[88:89], v[78:79]
	v_fma_f64 v[6:7], v[92:93], v[56:57], -v[38:39]
	v_fma_f64 v[38:39], v[88:89], v[76:77], -v[42:43]
	;; [unrolled: 1-line block ×4, first 2 shown]
	v_add_f64 v[2:3], v[48:49], -v[16:17]
	v_add_f64 v[12:13], v[46:47], -v[44:45]
	v_mul_f64 v[0:1], v[0:1], v[82:83]
	v_add_f64 v[36:37], v[16:17], v[44:45]
	v_add_f64 v[50:51], v[26:27], -v[32:33]
	v_add_f64 v[52:53], v[30:31], -v[4:5]
	v_add_f64 v[60:61], v[10:11], -v[6:7]
	v_add_f64 v[62:63], v[34:35], -v[38:39]
	v_add_f64 v[12:13], v[2:3], v[12:13]
	v_fma_f64 v[0:1], v[70:71], v[80:81], -v[0:1]
	v_add_f64 v[2:3], v[6:7], v[38:39]
	v_fma_f64 v[72:73], -0.5, v[36:37], v[64:65]
	v_add_f64 v[36:37], v[50:51], v[52:53]
	v_add_f64 v[52:53], v[60:61], v[62:63]
	v_fma_f64 v[62:63], -0.5, v[2:3], v[0:1]
	v_add_f64 v[2:3], v[16:17], -v[48:49]
	v_add_f64 v[80:81], v[44:45], -v[46:47]
	v_add_f64 v[2:3], v[2:3], v[80:81]
	v_add_f64 v[80:81], v[48:49], v[46:47]
	v_add_f64 v[42:43], v[24:25], -v[28:29]
	v_fma_f64 v[80:81], -0.5, v[80:81], v[64:65]
	v_fmac_f64_e32 v[14:15], v[70:71], v[82:83]
	v_add_f64 v[40:41], v[22:23], -v[18:19]
	v_fma_f64 v[82:83], s[8:9], v[42:43], v[80:81]
	v_fmac_f64_e32 v[80:81], s[4:5], v[42:43]
	v_fmac_f64_e32 v[82:83], s[0:1], v[40:41]
	;; [unrolled: 1-line block ×5, first 2 shown]
	v_add_f64 v[2:3], v[10:11], v[34:35]
	v_fma_f64 v[92:93], -0.5, v[2:3], v[0:1]
	v_add_f64 v[0:1], v[10:11], v[0:1]
	v_add_f64 v[84:85], v[32:33], -v[26:27]
	v_add_f64 v[86:87], v[4:5], -v[30:31]
	v_add_f64 v[0:1], v[6:7], v[0:1]
	v_add_f64 v[56:57], v[32:33], v[4:5]
	v_add_f64 v[58:59], v[10:11], -v[34:35]
	v_add_f64 v[70:71], v[26:27], -v[30:31]
	v_add_f64 v[84:85], v[84:85], v[86:87]
	v_add_f64 v[86:87], v[26:27], v[30:31]
	v_add_f64 v[88:89], v[6:7], -v[10:11]
	v_add_f64 v[10:11], v[48:49], v[64:65]
	v_add_f64 v[0:1], v[38:39], v[0:1]
	v_add_f64 v[54:55], v[6:7], -v[38:39]
	v_fma_f64 v[50:51], -0.5, v[56:57], v[14:15]
	v_fma_f64 v[74:75], s[4:5], v[70:71], v[62:63]
	v_add_f64 v[76:77], v[32:33], -v[4:5]
	v_fma_f64 v[86:87], -0.5, v[86:87], v[14:15]
	v_add_f64 v[90:91], v[38:39], -v[34:35]
	v_add_f64 v[10:11], v[16:17], v[10:11]
	v_add_f64 v[64:65], v[34:35], v[0:1]
	v_add_f64 v[0:1], v[22:23], -v[24:25]
	v_add_f64 v[6:7], v[18:19], -v[28:29]
	v_fma_f64 v[60:61], s[8:9], v[58:59], v[50:51]
	v_fmac_f64_e32 v[74:75], s[0:1], v[76:77]
	v_add_f64 v[88:89], v[88:89], v[90:91]
	v_fma_f64 v[90:91], s[4:5], v[54:55], v[86:87]
	v_fmac_f64_e32 v[86:87], s[8:9], v[54:55]
	v_add_f64 v[10:11], v[44:45], v[10:11]
	v_add_f64 v[38:39], v[0:1], v[6:7]
	;; [unrolled: 1-line block ×3, first 2 shown]
	v_fmac_f64_e32 v[60:61], s[10:11], v[54:55]
	v_fmac_f64_e32 v[74:75], s[2:3], v[52:53]
	;; [unrolled: 1-line block ×5, first 2 shown]
	v_add_f64 v[58:59], v[46:47], v[10:11]
	v_add_f64 v[16:17], v[16:17], -v[44:45]
	v_add_f64 v[44:45], v[48:49], -v[46:47]
	v_fma_f64 v[46:47], -0.5, v[0:1], v[20:21]
	v_add_f64 v[0:1], v[24:25], -v[22:23]
	v_add_f64 v[10:11], v[28:29], -v[18:19]
	v_fmac_f64_e32 v[60:61], s[2:3], v[36:37]
	v_mul_f64 v[78:79], v[74:75], s[12:13]
	v_fmac_f64_e32 v[62:63], s[8:9], v[70:71]
	v_mul_f64 v[48:49], v[74:75], s[0:1]
	v_add_f64 v[0:1], v[0:1], v[10:11]
	v_add_f64 v[10:11], v[22:23], v[18:19]
	v_fmac_f64_e32 v[78:79], s[10:11], v[60:61]
	v_fmac_f64_e32 v[90:91], s[2:3], v[84:85]
	;; [unrolled: 1-line block ×3, first 2 shown]
	v_fma_f64 v[84:85], s[8:9], v[76:77], v[92:93]
	v_fmac_f64_e32 v[92:93], s[4:5], v[76:77]
	v_fmac_f64_e32 v[62:63], s[10:11], v[76:77]
	;; [unrolled: 1-line block ×3, first 2 shown]
	v_fma_f64 v[60:61], -0.5, v[10:11], v[20:21]
	v_fma_f64 v[76:77], s[8:9], v[44:45], v[46:47]
	v_fmac_f64_e32 v[46:47], s[4:5], v[44:45]
	v_fma_f64 v[74:75], s[4:5], v[16:17], v[60:61]
	v_fmac_f64_e32 v[60:61], s[8:9], v[16:17]
	v_fmac_f64_e32 v[76:77], s[10:11], v[16:17]
	v_fmac_f64_e32 v[46:47], s[0:1], v[16:17]
	v_add_f64 v[16:17], v[20:21], v[22:23]
	v_add_f64 v[14:15], v[26:27], v[14:15]
	v_fmac_f64_e32 v[84:85], s[0:1], v[70:71]
	v_fmac_f64_e32 v[92:93], s[10:11], v[70:71]
	;; [unrolled: 1-line block ×4, first 2 shown]
	v_add_f64 v[16:17], v[16:17], v[24:25]
	v_add_f64 v[14:15], v[32:33], v[14:15]
	v_fma_f64 v[56:57], s[4:5], v[40:41], v[72:73]
	v_fmac_f64_e32 v[84:85], s[2:3], v[88:89]
	v_fmac_f64_e32 v[92:93], s[2:3], v[88:89]
	;; [unrolled: 1-line block ×4, first 2 shown]
	v_mul_f64 v[52:53], v[62:63], s[16:17]
	v_fmac_f64_e32 v[74:75], s[10:11], v[44:45]
	v_fmac_f64_e32 v[60:61], s[0:1], v[44:45]
	v_mul_f64 v[44:45], v[62:63], s[0:1]
	v_add_f64 v[16:17], v[16:17], v[28:29]
	v_add_f64 v[4:5], v[4:5], v[14:15]
	v_fmac_f64_e32 v[56:57], s[0:1], v[42:43]
	v_fmac_f64_e32 v[72:73], s[10:11], v[42:43]
	v_mul_f64 v[42:43], v[84:85], s[14:15]
	v_mul_f64 v[54:55], v[92:93], s[2:3]
	v_fmac_f64_e32 v[52:53], s[10:11], v[50:51]
	v_mul_f64 v[70:71], v[84:85], s[4:5]
	v_mul_f64 v[84:85], v[92:93], s[4:5]
	v_fmac_f64_e32 v[44:45], s[16:17], v[50:51]
	v_add_f64 v[50:51], v[18:19], v[16:17]
	v_add_f64 v[30:31], v[30:31], v[4:5]
	v_fmac_f64_e32 v[56:57], s[2:3], v[12:13]
	v_fmac_f64_e32 v[42:43], s[8:9], v[90:91]
	;; [unrolled: 1-line block ×10, first 2 shown]
	v_add_f64 v[4:5], v[50:51], -v[30:31]
	v_add_f64 v[32:33], v[58:59], v[64:65]
	v_add_f64 v[30:31], v[50:51], v[30:31]
	v_add_f64 v[2:3], v[56:57], -v[78:79]
	v_add_f64 v[12:13], v[82:83], -v[42:43]
	;; [unrolled: 1-line block ×9, first 2 shown]
	v_add_f64 v[16:17], v[56:57], v[78:79]
	v_add_f64 v[20:21], v[82:83], v[42:43]
	;; [unrolled: 1-line block ×8, first 2 shown]
	global_store_dwordx4 v[8:9], v[30:33], off
	global_store_dwordx4 v[8:9], v[26:29], off offset:144
	global_store_dwordx4 v[8:9], v[22:25], off offset:288
	;; [unrolled: 1-line block ×9, first 2 shown]
.LBB0_28:
	s_endpgm
	.section	.rodata,"a",@progbits
	.p2align	6, 0x0
	.amdhsa_kernel fft_rtc_back_len90_factors_3_3_10_wgs_63_tpt_9_halfLds_dp_op_CI_CI_unitstride_sbrr_dirReg
		.amdhsa_group_segment_fixed_size 0
		.amdhsa_private_segment_fixed_size 0
		.amdhsa_kernarg_size 104
		.amdhsa_user_sgpr_count 2
		.amdhsa_user_sgpr_dispatch_ptr 0
		.amdhsa_user_sgpr_queue_ptr 0
		.amdhsa_user_sgpr_kernarg_segment_ptr 1
		.amdhsa_user_sgpr_dispatch_id 0
		.amdhsa_user_sgpr_kernarg_preload_length 0
		.amdhsa_user_sgpr_kernarg_preload_offset 0
		.amdhsa_user_sgpr_private_segment_size 0
		.amdhsa_uses_dynamic_stack 0
		.amdhsa_enable_private_segment 0
		.amdhsa_system_sgpr_workgroup_id_x 1
		.amdhsa_system_sgpr_workgroup_id_y 0
		.amdhsa_system_sgpr_workgroup_id_z 0
		.amdhsa_system_sgpr_workgroup_info 0
		.amdhsa_system_vgpr_workitem_id 0
		.amdhsa_next_free_vgpr 104
		.amdhsa_next_free_sgpr 28
		.amdhsa_accum_offset 104
		.amdhsa_reserve_vcc 1
		.amdhsa_float_round_mode_32 0
		.amdhsa_float_round_mode_16_64 0
		.amdhsa_float_denorm_mode_32 3
		.amdhsa_float_denorm_mode_16_64 3
		.amdhsa_dx10_clamp 1
		.amdhsa_ieee_mode 1
		.amdhsa_fp16_overflow 0
		.amdhsa_tg_split 0
		.amdhsa_exception_fp_ieee_invalid_op 0
		.amdhsa_exception_fp_denorm_src 0
		.amdhsa_exception_fp_ieee_div_zero 0
		.amdhsa_exception_fp_ieee_overflow 0
		.amdhsa_exception_fp_ieee_underflow 0
		.amdhsa_exception_fp_ieee_inexact 0
		.amdhsa_exception_int_div_zero 0
	.end_amdhsa_kernel
	.text
.Lfunc_end0:
	.size	fft_rtc_back_len90_factors_3_3_10_wgs_63_tpt_9_halfLds_dp_op_CI_CI_unitstride_sbrr_dirReg, .Lfunc_end0-fft_rtc_back_len90_factors_3_3_10_wgs_63_tpt_9_halfLds_dp_op_CI_CI_unitstride_sbrr_dirReg
                                        ; -- End function
	.section	.AMDGPU.csdata,"",@progbits
; Kernel info:
; codeLenInByte = 5296
; NumSgprs: 34
; NumVgprs: 104
; NumAgprs: 0
; TotalNumVgprs: 104
; ScratchSize: 0
; MemoryBound: 1
; FloatMode: 240
; IeeeMode: 1
; LDSByteSize: 0 bytes/workgroup (compile time only)
; SGPRBlocks: 4
; VGPRBlocks: 12
; NumSGPRsForWavesPerEU: 34
; NumVGPRsForWavesPerEU: 104
; AccumOffset: 104
; Occupancy: 4
; WaveLimiterHint : 1
; COMPUTE_PGM_RSRC2:SCRATCH_EN: 0
; COMPUTE_PGM_RSRC2:USER_SGPR: 2
; COMPUTE_PGM_RSRC2:TRAP_HANDLER: 0
; COMPUTE_PGM_RSRC2:TGID_X_EN: 1
; COMPUTE_PGM_RSRC2:TGID_Y_EN: 0
; COMPUTE_PGM_RSRC2:TGID_Z_EN: 0
; COMPUTE_PGM_RSRC2:TIDIG_COMP_CNT: 0
; COMPUTE_PGM_RSRC3_GFX90A:ACCUM_OFFSET: 25
; COMPUTE_PGM_RSRC3_GFX90A:TG_SPLIT: 0
	.text
	.p2alignl 6, 3212836864
	.fill 256, 4, 3212836864
	.type	__hip_cuid_f91f3e481f73f19,@object ; @__hip_cuid_f91f3e481f73f19
	.section	.bss,"aw",@nobits
	.globl	__hip_cuid_f91f3e481f73f19
__hip_cuid_f91f3e481f73f19:
	.byte	0                               ; 0x0
	.size	__hip_cuid_f91f3e481f73f19, 1

	.ident	"AMD clang version 19.0.0git (https://github.com/RadeonOpenCompute/llvm-project roc-6.4.0 25133 c7fe45cf4b819c5991fe208aaa96edf142730f1d)"
	.section	".note.GNU-stack","",@progbits
	.addrsig
	.addrsig_sym __hip_cuid_f91f3e481f73f19
	.amdgpu_metadata
---
amdhsa.kernels:
  - .agpr_count:     0
    .args:
      - .actual_access:  read_only
        .address_space:  global
        .offset:         0
        .size:           8
        .value_kind:     global_buffer
      - .offset:         8
        .size:           8
        .value_kind:     by_value
      - .actual_access:  read_only
        .address_space:  global
        .offset:         16
        .size:           8
        .value_kind:     global_buffer
      - .actual_access:  read_only
        .address_space:  global
        .offset:         24
        .size:           8
        .value_kind:     global_buffer
      - .actual_access:  read_only
        .address_space:  global
        .offset:         32
        .size:           8
        .value_kind:     global_buffer
      - .offset:         40
        .size:           8
        .value_kind:     by_value
      - .actual_access:  read_only
        .address_space:  global
        .offset:         48
        .size:           8
        .value_kind:     global_buffer
      - .actual_access:  read_only
        .address_space:  global
        .offset:         56
        .size:           8
        .value_kind:     global_buffer
      - .offset:         64
        .size:           4
        .value_kind:     by_value
      - .actual_access:  read_only
        .address_space:  global
        .offset:         72
        .size:           8
        .value_kind:     global_buffer
      - .actual_access:  read_only
        .address_space:  global
        .offset:         80
        .size:           8
        .value_kind:     global_buffer
      - .actual_access:  read_only
        .address_space:  global
        .offset:         88
        .size:           8
        .value_kind:     global_buffer
      - .actual_access:  write_only
        .address_space:  global
        .offset:         96
        .size:           8
        .value_kind:     global_buffer
    .group_segment_fixed_size: 0
    .kernarg_segment_align: 8
    .kernarg_segment_size: 104
    .language:       OpenCL C
    .language_version:
      - 2
      - 0
    .max_flat_workgroup_size: 63
    .name:           fft_rtc_back_len90_factors_3_3_10_wgs_63_tpt_9_halfLds_dp_op_CI_CI_unitstride_sbrr_dirReg
    .private_segment_fixed_size: 0
    .sgpr_count:     34
    .sgpr_spill_count: 0
    .symbol:         fft_rtc_back_len90_factors_3_3_10_wgs_63_tpt_9_halfLds_dp_op_CI_CI_unitstride_sbrr_dirReg.kd
    .uniform_work_group_size: 1
    .uses_dynamic_stack: false
    .vgpr_count:     104
    .vgpr_spill_count: 0
    .wavefront_size: 64
amdhsa.target:   amdgcn-amd-amdhsa--gfx950
amdhsa.version:
  - 1
  - 2
...

	.end_amdgpu_metadata
